;; amdgpu-corpus repo=zjin-lcf/HeCBench kind=compiled arch=gfx906 opt=O3
	.amdgcn_target "amdgcn-amd-amdhsa--gfx906"
	.amdhsa_code_object_version 6
	.text
	.protected	_Z19RANSAC_kernel_blockPKfPK10flowvectoriiifPiS4_S4_ ; -- Begin function _Z19RANSAC_kernel_blockPKfPK10flowvectoriiifPiS4_S4_
	.globl	_Z19RANSAC_kernel_blockPKfPK10flowvectoriiifPiS4_S4_
	.p2align	8
	.type	_Z19RANSAC_kernel_blockPKfPK10flowvectoriiifPiS4_S4_,@function
_Z19RANSAC_kernel_blockPKfPK10flowvectoriiifPiS4_S4_: ; @_Z19RANSAC_kernel_blockPKfPK10flowvectoriiifPiS4_S4_
; %bb.0:
	s_load_dwordx4 s[8:11], s[4:5], 0x10
	s_waitcnt lgkmcnt(0)
	s_cmp_ge_i32 s6, s9
	s_cbranch_scc1 .LBB0_24
; %bb.1:
	s_load_dwordx4 s[12:15], s[4:5], 0x0
	s_load_dwordx4 s[16:19], s[4:5], 0x20
	s_load_dwordx2 s[22:23], s[4:5], 0x30
	s_load_dword s7, s[4:5], 0x38
	v_cvt_f32_i32_e32 v1, s8
	v_cvt_f32_i32_e32 v7, s10
	s_add_u32 s20, s4, 56
	s_addc_u32 s21, s5, 0
	v_cmp_eq_u32_e64 s[0:1], 0, v0
	v_cmp_gt_i32_e64 s[2:3], s8, v0
	v_mul_f32_e32 v8, s11, v1
	v_mov_b32_e32 v9, 0
	v_mov_b32_e32 v10, 0xc4fb6000
	s_branch .LBB0_5
.LBB0_2:                                ;   in Loop: Header=BB0_5 Depth=1
	s_or_b64 exec, exec, s[10:11]
	s_waitcnt vmcnt(0)
	v_readfirstlane_b32 s10, v3
	v_add_u32_e32 v2, s10, v2
	v_ashrrev_i32_e32 v3, 31, v2
	v_lshlrev_b64 v[2:3], 2, v[2:3]
	v_mov_b32_e32 v5, s19
	v_add_co_u32_e32 v4, vcc, s18, v2
	v_addc_co_u32_e32 v5, vcc, v5, v3, vcc
	v_mov_b32_e32 v6, s6
	global_store_dword v[4:5], v6, off
	v_mov_b32_e32 v4, s23
	v_add_co_u32_e32 v2, vcc, s22, v2
	v_addc_co_u32_e32 v3, vcc, v4, v3, vcc
	global_store_dword v[2:3], v1, off
.LBB0_3:                                ;   in Loop: Header=BB0_5 Depth=1
	s_or_b64 exec, exec, s[4:5]
.LBB0_4:                                ;   in Loop: Header=BB0_5 Depth=1
	s_add_i32 s6, s6, s7
	s_cmp_ge_i32 s6, s9
	s_cbranch_scc1 .LBB0_24
.LBB0_5:                                ; =>This Loop Header: Depth=1
                                        ;     Child Loop BB0_11 Depth 2
                                        ;     Child Loop BB0_17 Depth 2
	s_and_saveexec_b64 s[4:5], s[0:1]
; %bb.6:                                ;   in Loop: Header=BB0_5 Depth=1
	ds_write_b32 v9, v9
; %bb.7:                                ;   in Loop: Header=BB0_5 Depth=1
	s_or_b64 exec, exec, s[4:5]
	s_lshl_b32 s4, s6, 2
	s_ashr_i32 s5, s4, 31
	s_lshl_b64 s[4:5], s[4:5], 2
	s_waitcnt lgkmcnt(0)
	s_add_u32 s24, s12, s4
	s_addc_u32 s25, s13, s5
	s_waitcnt vmcnt(0)
	s_barrier
	s_load_dword s30, s[24:25], 0x0
	s_waitcnt lgkmcnt(0)
	v_cmp_eq_f32_e32 vcc, s30, v10
	s_cbranch_vccnz .LBB0_4
; %bb.8:                                ;   in Loop: Header=BB0_5 Depth=1
	v_mov_b32_e32 v11, 0
	s_and_saveexec_b64 s[4:5], s[2:3]
	s_cbranch_execz .LBB0_16
; %bb.9:                                ;   in Loop: Header=BB0_5 Depth=1
	s_load_dword s26, s[20:21], 0xc
	s_load_dwordx2 s[10:11], s[24:25], 0x4
	s_load_dword s31, s[24:25], 0xc
	v_mov_b32_e32 v11, 0
	s_mov_b64 s[24:25], 0
	s_waitcnt lgkmcnt(0)
	s_and_b32 s33, s26, 0xffff
	v_mov_b32_e32 v4, v0
	s_branch .LBB0_11
.LBB0_10:                               ;   in Loop: Header=BB0_11 Depth=2
	s_or_b64 exec, exec, s[28:29]
	v_add_u32_e32 v4, s33, v4
	v_cmp_le_i32_e32 vcc, s8, v4
	s_or_b64 s[24:25], vcc, s[24:25]
	s_andn2_b64 exec, exec, s[24:25]
	s_cbranch_execz .LBB0_15
.LBB0_11:                               ;   Parent Loop BB0_5 Depth=1
                                        ; =>  This Inner Loop Header: Depth=2
	v_ashrrev_i32_e32 v5, 31, v4
	v_lshlrev_b64 v[1:2], 4, v[4:5]
	v_mov_b32_e32 v3, s15
	v_add_co_u32_e32 v5, vcc, s14, v1
	v_addc_co_u32_e32 v6, vcc, v3, v2, vcc
	global_load_dwordx3 v[1:3], v[5:6], off
	s_waitcnt vmcnt(0)
	v_cvt_f32_i32_e32 v12, v1
	v_cvt_f32_i32_e32 v13, v2
	v_subrev_f32_e32 v12, s30, v12
	v_subrev_f32_e32 v13, s10, v13
	v_mul_f32_e32 v14, s11, v12
	v_mul_f32_e32 v15, s31, v13
	v_cvt_i32_f32_e32 v14, v14
	v_cvt_i32_f32_e32 v15, v15
	v_add_u32_e32 v1, v1, v14
	v_add_u32_e32 v3, v3, v15
	v_sub_u32_e32 v1, v1, v3
	v_cvt_f32_i32_e32 v1, v1
	v_cmp_ge_f32_e64 s[26:27], |v1|, v7
	v_cmp_nge_f32_e64 s[34:35], |v1|, v7
	s_and_saveexec_b64 s[28:29], s[34:35]
	s_cbranch_execz .LBB0_13
; %bb.12:                               ;   in Loop: Header=BB0_11 Depth=2
	global_load_dword v1, v[5:6], off offset:12
	v_mul_f32_e32 v3, s11, v13
	v_mul_f32_e32 v5, s31, v12
	v_cvt_i32_f32_e32 v3, v3
	v_cvt_i32_f32_e32 v5, v5
	s_andn2_b64 s[26:27], s[26:27], exec
	v_add3_u32 v2, v2, v5, v3
	s_waitcnt vmcnt(0)
	v_sub_u32_e32 v1, v2, v1
	v_cvt_f32_i32_e32 v1, v1
	v_cmp_ge_f32_e64 s[34:35], |v1|, v7
	s_and_b64 s[34:35], s[34:35], exec
	s_or_b64 s[26:27], s[26:27], s[34:35]
.LBB0_13:                               ;   in Loop: Header=BB0_11 Depth=2
	s_or_b64 exec, exec, s[28:29]
	s_and_saveexec_b64 s[28:29], s[26:27]
	s_cbranch_execz .LBB0_10
; %bb.14:                               ;   in Loop: Header=BB0_11 Depth=2
	v_add_u32_e32 v11, 1, v11
	s_branch .LBB0_10
.LBB0_15:                               ;   in Loop: Header=BB0_5 Depth=1
	s_or_b64 exec, exec, s[24:25]
.LBB0_16:                               ;   in Loop: Header=BB0_5 Depth=1
	s_or_b64 exec, exec, s[4:5]
	s_mov_b64 s[4:5], exec
	s_mov_b32 s10, 0
.LBB0_17:                               ;   Parent Loop BB0_5 Depth=1
                                        ; =>  This Inner Loop Header: Depth=2
	s_ff1_i32_b64 s11, s[4:5]
	v_readlane_b32 s26, v11, s11
	s_lshl_b64 s[24:25], 1, s11
	s_add_i32 s10, s10, s26
	s_andn2_b64 s[4:5], s[4:5], s[24:25]
	s_cmp_lg_u64 s[4:5], 0
	s_cbranch_scc1 .LBB0_17
; %bb.18:                               ;   in Loop: Header=BB0_5 Depth=1
	v_mbcnt_lo_u32_b32 v1, exec_lo, 0
	v_mbcnt_hi_u32_b32 v1, exec_hi, v1
	v_cmp_eq_u32_e32 vcc, 0, v1
	s_and_saveexec_b64 s[4:5], vcc
	s_xor_b64 s[4:5], exec, s[4:5]
; %bb.19:                               ;   in Loop: Header=BB0_5 Depth=1
	v_mov_b32_e32 v1, s10
	ds_add_u32 v9, v1
; %bb.20:                               ;   in Loop: Header=BB0_5 Depth=1
	s_or_b64 exec, exec, s[4:5]
	s_waitcnt lgkmcnt(0)
	s_barrier
	s_and_saveexec_b64 s[4:5], s[0:1]
	s_cbranch_execz .LBB0_3
; %bb.21:                               ;   in Loop: Header=BB0_5 Depth=1
	ds_read_b32 v1, v9
	s_waitcnt lgkmcnt(0)
	v_cvt_f32_i32_e32 v2, v1
	v_cmp_ngt_f32_e32 vcc, v8, v2
	s_cbranch_vccnz .LBB0_3
; %bb.22:                               ;   in Loop: Header=BB0_5 Depth=1
	s_mov_b64 s[24:25], exec
	v_mbcnt_lo_u32_b32 v2, s24, 0
	v_mbcnt_hi_u32_b32 v2, s25, v2
	v_cmp_eq_u32_e32 vcc, 0, v2
                                        ; implicit-def: $vgpr3
	s_and_saveexec_b64 s[10:11], vcc
	s_cbranch_execz .LBB0_2
; %bb.23:                               ;   in Loop: Header=BB0_5 Depth=1
	s_bcnt1_i32_b64 s24, s[24:25]
	v_mov_b32_e32 v3, s24
	global_atomic_add v3, v9, v3, s[16:17] glc
	s_branch .LBB0_2
.LBB0_24:
	s_endpgm
	.section	.rodata,"a",@progbits
	.p2align	6, 0x0
	.amdhsa_kernel _Z19RANSAC_kernel_blockPKfPK10flowvectoriiifPiS4_S4_
		.amdhsa_group_segment_fixed_size 0
		.amdhsa_private_segment_fixed_size 0
		.amdhsa_kernarg_size 312
		.amdhsa_user_sgpr_count 6
		.amdhsa_user_sgpr_private_segment_buffer 1
		.amdhsa_user_sgpr_dispatch_ptr 0
		.amdhsa_user_sgpr_queue_ptr 0
		.amdhsa_user_sgpr_kernarg_segment_ptr 1
		.amdhsa_user_sgpr_dispatch_id 0
		.amdhsa_user_sgpr_flat_scratch_init 0
		.amdhsa_user_sgpr_private_segment_size 0
		.amdhsa_uses_dynamic_stack 0
		.amdhsa_system_sgpr_private_segment_wavefront_offset 0
		.amdhsa_system_sgpr_workgroup_id_x 1
		.amdhsa_system_sgpr_workgroup_id_y 0
		.amdhsa_system_sgpr_workgroup_id_z 0
		.amdhsa_system_sgpr_workgroup_info 0
		.amdhsa_system_vgpr_workitem_id 0
		.amdhsa_next_free_vgpr 16
		.amdhsa_next_free_sgpr 36
		.amdhsa_reserve_vcc 1
		.amdhsa_reserve_flat_scratch 0
		.amdhsa_float_round_mode_32 0
		.amdhsa_float_round_mode_16_64 0
		.amdhsa_float_denorm_mode_32 3
		.amdhsa_float_denorm_mode_16_64 3
		.amdhsa_dx10_clamp 1
		.amdhsa_ieee_mode 1
		.amdhsa_fp16_overflow 0
		.amdhsa_exception_fp_ieee_invalid_op 0
		.amdhsa_exception_fp_denorm_src 0
		.amdhsa_exception_fp_ieee_div_zero 0
		.amdhsa_exception_fp_ieee_overflow 0
		.amdhsa_exception_fp_ieee_underflow 0
		.amdhsa_exception_fp_ieee_inexact 0
		.amdhsa_exception_int_div_zero 0
	.end_amdhsa_kernel
	.text
.Lfunc_end0:
	.size	_Z19RANSAC_kernel_blockPKfPK10flowvectoriiifPiS4_S4_, .Lfunc_end0-_Z19RANSAC_kernel_blockPKfPK10flowvectoriiifPiS4_S4_
                                        ; -- End function
	.set _Z19RANSAC_kernel_blockPKfPK10flowvectoriiifPiS4_S4_.num_vgpr, 16
	.set _Z19RANSAC_kernel_blockPKfPK10flowvectoriiifPiS4_S4_.num_agpr, 0
	.set _Z19RANSAC_kernel_blockPKfPK10flowvectoriiifPiS4_S4_.numbered_sgpr, 36
	.set _Z19RANSAC_kernel_blockPKfPK10flowvectoriiifPiS4_S4_.num_named_barrier, 0
	.set _Z19RANSAC_kernel_blockPKfPK10flowvectoriiifPiS4_S4_.private_seg_size, 0
	.set _Z19RANSAC_kernel_blockPKfPK10flowvectoriiifPiS4_S4_.uses_vcc, 1
	.set _Z19RANSAC_kernel_blockPKfPK10flowvectoriiifPiS4_S4_.uses_flat_scratch, 0
	.set _Z19RANSAC_kernel_blockPKfPK10flowvectoriiifPiS4_S4_.has_dyn_sized_stack, 0
	.set _Z19RANSAC_kernel_blockPKfPK10flowvectoriiifPiS4_S4_.has_recursion, 0
	.set _Z19RANSAC_kernel_blockPKfPK10flowvectoriiifPiS4_S4_.has_indirect_call, 0
	.section	.AMDGPU.csdata,"",@progbits
; Kernel info:
; codeLenInByte = 728
; TotalNumSgprs: 40
; NumVgprs: 16
; ScratchSize: 0
; MemoryBound: 0
; FloatMode: 240
; IeeeMode: 1
; LDSByteSize: 0 bytes/workgroup (compile time only)
; SGPRBlocks: 4
; VGPRBlocks: 3
; NumSGPRsForWavesPerEU: 40
; NumVGPRsForWavesPerEU: 16
; Occupancy: 10
; WaveLimiterHint : 0
; COMPUTE_PGM_RSRC2:SCRATCH_EN: 0
; COMPUTE_PGM_RSRC2:USER_SGPR: 6
; COMPUTE_PGM_RSRC2:TRAP_HANDLER: 0
; COMPUTE_PGM_RSRC2:TGID_X_EN: 1
; COMPUTE_PGM_RSRC2:TGID_Y_EN: 0
; COMPUTE_PGM_RSRC2:TGID_Z_EN: 0
; COMPUTE_PGM_RSRC2:TIDIG_COMP_CNT: 0
	.section	.AMDGPU.gpr_maximums,"",@progbits
	.set amdgpu.max_num_vgpr, 0
	.set amdgpu.max_num_agpr, 0
	.set amdgpu.max_num_sgpr, 0
	.section	.AMDGPU.csdata,"",@progbits
	.type	__hip_cuid_537e6ae286a7e5e9,@object ; @__hip_cuid_537e6ae286a7e5e9
	.section	.bss,"aw",@nobits
	.globl	__hip_cuid_537e6ae286a7e5e9
__hip_cuid_537e6ae286a7e5e9:
	.byte	0                               ; 0x0
	.size	__hip_cuid_537e6ae286a7e5e9, 1

	.ident	"AMD clang version 22.0.0git (https://github.com/RadeonOpenCompute/llvm-project roc-7.2.4 26084 f58b06dce1f9c15707c5f808fd002e18c2accf7e)"
	.section	".note.GNU-stack","",@progbits
	.addrsig
	.addrsig_sym l_mem
	.addrsig_sym __hip_cuid_537e6ae286a7e5e9
	.amdgpu_metadata
---
amdhsa.kernels:
  - .args:
      - .actual_access:  read_only
        .address_space:  global
        .offset:         0
        .size:           8
        .value_kind:     global_buffer
      - .actual_access:  read_only
        .address_space:  global
        .offset:         8
        .size:           8
        .value_kind:     global_buffer
      - .offset:         16
        .size:           4
        .value_kind:     by_value
      - .offset:         20
        .size:           4
        .value_kind:     by_value
      - .offset:         24
        .size:           4
        .value_kind:     by_value
      - .offset:         28
        .size:           4
        .value_kind:     by_value
      - .address_space:  global
        .offset:         32
        .size:           8
        .value_kind:     global_buffer
      - .actual_access:  write_only
        .address_space:  global
        .offset:         40
        .size:           8
        .value_kind:     global_buffer
      - .actual_access:  write_only
        .address_space:  global
        .offset:         48
        .size:           8
        .value_kind:     global_buffer
      - .offset:         56
        .size:           4
        .value_kind:     hidden_block_count_x
      - .offset:         60
        .size:           4
        .value_kind:     hidden_block_count_y
      - .offset:         64
        .size:           4
        .value_kind:     hidden_block_count_z
      - .offset:         68
        .size:           2
        .value_kind:     hidden_group_size_x
      - .offset:         70
        .size:           2
        .value_kind:     hidden_group_size_y
      - .offset:         72
        .size:           2
        .value_kind:     hidden_group_size_z
      - .offset:         74
        .size:           2
        .value_kind:     hidden_remainder_x
      - .offset:         76
        .size:           2
        .value_kind:     hidden_remainder_y
      - .offset:         78
        .size:           2
        .value_kind:     hidden_remainder_z
      - .offset:         96
        .size:           8
        .value_kind:     hidden_global_offset_x
      - .offset:         104
        .size:           8
        .value_kind:     hidden_global_offset_y
      - .offset:         112
        .size:           8
        .value_kind:     hidden_global_offset_z
      - .offset:         120
        .size:           2
        .value_kind:     hidden_grid_dims
      - .offset:         176
        .size:           4
        .value_kind:     hidden_dynamic_lds_size
    .group_segment_fixed_size: 0
    .kernarg_segment_align: 8
    .kernarg_segment_size: 312
    .language:       OpenCL C
    .language_version:
      - 2
      - 0
    .max_flat_workgroup_size: 1024
    .name:           _Z19RANSAC_kernel_blockPKfPK10flowvectoriiifPiS4_S4_
    .private_segment_fixed_size: 0
    .sgpr_count:     40
    .sgpr_spill_count: 0
    .symbol:         _Z19RANSAC_kernel_blockPKfPK10flowvectoriiifPiS4_S4_.kd
    .uniform_work_group_size: 1
    .uses_dynamic_stack: false
    .vgpr_count:     16
    .vgpr_spill_count: 0
    .wavefront_size: 64
amdhsa.target:   amdgcn-amd-amdhsa--gfx906
amdhsa.version:
  - 1
  - 2
...

	.end_amdgpu_metadata
